;; amdgpu-corpus repo=ROCm/rocFFT kind=compiled arch=gfx906 opt=O3
	.text
	.amdgcn_target "amdgcn-amd-amdhsa--gfx906"
	.amdhsa_code_object_version 6
	.protected	fft_rtc_fwd_len120_factors_6_10_2_wgs_60_tpt_12_halfLds_half_ip_CI_unitstride_sbrr_C2R_dirReg ; -- Begin function fft_rtc_fwd_len120_factors_6_10_2_wgs_60_tpt_12_halfLds_half_ip_CI_unitstride_sbrr_C2R_dirReg
	.globl	fft_rtc_fwd_len120_factors_6_10_2_wgs_60_tpt_12_halfLds_half_ip_CI_unitstride_sbrr_C2R_dirReg
	.p2align	8
	.type	fft_rtc_fwd_len120_factors_6_10_2_wgs_60_tpt_12_halfLds_half_ip_CI_unitstride_sbrr_C2R_dirReg,@function
fft_rtc_fwd_len120_factors_6_10_2_wgs_60_tpt_12_halfLds_half_ip_CI_unitstride_sbrr_C2R_dirReg: ; @fft_rtc_fwd_len120_factors_6_10_2_wgs_60_tpt_12_halfLds_half_ip_CI_unitstride_sbrr_C2R_dirReg
; %bb.0:
	s_load_dwordx2 s[2:3], s[4:5], 0x50
	s_load_dwordx4 s[8:11], s[4:5], 0x0
	s_load_dwordx2 s[12:13], s[4:5], 0x18
	v_mul_u32_u24_e32 v1, 0x1556, v0
	v_lshrrev_b32_e32 v1, 16, v1
	v_mad_u64_u32 v[1:2], s[0:1], s6, 5, v[1:2]
	v_mov_b32_e32 v5, 0
	s_waitcnt lgkmcnt(0)
	v_cmp_lt_u64_e64 s[0:1], s[10:11], 2
	v_mov_b32_e32 v2, v5
	v_mov_b32_e32 v3, 0
	;; [unrolled: 1-line block ×3, first 2 shown]
	s_and_b64 vcc, exec, s[0:1]
	v_mov_b32_e32 v4, 0
	v_mov_b32_e32 v9, v1
	s_cbranch_vccnz .LBB0_8
; %bb.1:
	s_load_dwordx2 s[0:1], s[4:5], 0x10
	s_add_u32 s6, s12, 8
	s_addc_u32 s7, s13, 0
	v_mov_b32_e32 v3, 0
	v_mov_b32_e32 v8, v2
	s_waitcnt lgkmcnt(0)
	s_add_u32 s16, s0, 8
	s_mov_b64 s[14:15], 1
	v_mov_b32_e32 v4, 0
	s_addc_u32 s17, s1, 0
	v_mov_b32_e32 v7, v1
.LBB0_2:                                ; =>This Inner Loop Header: Depth=1
	s_load_dwordx2 s[18:19], s[16:17], 0x0
                                        ; implicit-def: $vgpr9_vgpr10
	s_waitcnt lgkmcnt(0)
	v_or_b32_e32 v6, s19, v8
	v_cmp_ne_u64_e32 vcc, 0, v[5:6]
	s_and_saveexec_b64 s[0:1], vcc
	s_xor_b64 s[20:21], exec, s[0:1]
	s_cbranch_execz .LBB0_4
; %bb.3:                                ;   in Loop: Header=BB0_2 Depth=1
	v_cvt_f32_u32_e32 v2, s18
	v_cvt_f32_u32_e32 v6, s19
	s_sub_u32 s0, 0, s18
	s_subb_u32 s1, 0, s19
	v_mac_f32_e32 v2, 0x4f800000, v6
	v_rcp_f32_e32 v2, v2
	v_mul_f32_e32 v2, 0x5f7ffffc, v2
	v_mul_f32_e32 v6, 0x2f800000, v2
	v_trunc_f32_e32 v6, v6
	v_mac_f32_e32 v2, 0xcf800000, v6
	v_cvt_u32_f32_e32 v6, v6
	v_cvt_u32_f32_e32 v2, v2
	v_mul_lo_u32 v9, s0, v6
	v_mul_hi_u32 v10, s0, v2
	v_mul_lo_u32 v12, s1, v2
	v_mul_lo_u32 v11, s0, v2
	v_add_u32_e32 v9, v10, v9
	v_add_u32_e32 v9, v9, v12
	v_mul_hi_u32 v10, v2, v11
	v_mul_lo_u32 v12, v2, v9
	v_mul_hi_u32 v14, v2, v9
	v_mul_hi_u32 v13, v6, v11
	v_mul_lo_u32 v11, v6, v11
	v_mul_hi_u32 v15, v6, v9
	v_add_co_u32_e32 v10, vcc, v10, v12
	v_addc_co_u32_e32 v12, vcc, 0, v14, vcc
	v_mul_lo_u32 v9, v6, v9
	v_add_co_u32_e32 v10, vcc, v10, v11
	v_addc_co_u32_e32 v10, vcc, v12, v13, vcc
	v_addc_co_u32_e32 v11, vcc, 0, v15, vcc
	v_add_co_u32_e32 v9, vcc, v10, v9
	v_addc_co_u32_e32 v10, vcc, 0, v11, vcc
	v_add_co_u32_e32 v2, vcc, v2, v9
	v_addc_co_u32_e32 v6, vcc, v6, v10, vcc
	v_mul_lo_u32 v9, s0, v6
	v_mul_hi_u32 v10, s0, v2
	v_mul_lo_u32 v11, s1, v2
	v_mul_lo_u32 v12, s0, v2
	v_add_u32_e32 v9, v10, v9
	v_add_u32_e32 v9, v9, v11
	v_mul_lo_u32 v13, v2, v9
	v_mul_hi_u32 v14, v2, v12
	v_mul_hi_u32 v15, v2, v9
	;; [unrolled: 1-line block ×3, first 2 shown]
	v_mul_lo_u32 v12, v6, v12
	v_mul_hi_u32 v10, v6, v9
	v_add_co_u32_e32 v13, vcc, v14, v13
	v_addc_co_u32_e32 v14, vcc, 0, v15, vcc
	v_mul_lo_u32 v9, v6, v9
	v_add_co_u32_e32 v12, vcc, v13, v12
	v_addc_co_u32_e32 v11, vcc, v14, v11, vcc
	v_addc_co_u32_e32 v10, vcc, 0, v10, vcc
	v_add_co_u32_e32 v9, vcc, v11, v9
	v_addc_co_u32_e32 v10, vcc, 0, v10, vcc
	v_add_co_u32_e32 v2, vcc, v2, v9
	v_addc_co_u32_e32 v6, vcc, v6, v10, vcc
	v_mad_u64_u32 v[9:10], s[0:1], v7, v6, 0
	v_mul_hi_u32 v11, v7, v2
	v_add_co_u32_e32 v13, vcc, v11, v9
	v_addc_co_u32_e32 v14, vcc, 0, v10, vcc
	v_mad_u64_u32 v[9:10], s[0:1], v8, v2, 0
	v_mad_u64_u32 v[11:12], s[0:1], v8, v6, 0
	v_add_co_u32_e32 v2, vcc, v13, v9
	v_addc_co_u32_e32 v2, vcc, v14, v10, vcc
	v_addc_co_u32_e32 v6, vcc, 0, v12, vcc
	v_add_co_u32_e32 v2, vcc, v2, v11
	v_addc_co_u32_e32 v6, vcc, 0, v6, vcc
	v_mul_lo_u32 v11, s19, v2
	v_mul_lo_u32 v12, s18, v6
	v_mad_u64_u32 v[9:10], s[0:1], s18, v2, 0
	v_add3_u32 v10, v10, v12, v11
	v_sub_u32_e32 v11, v8, v10
	v_mov_b32_e32 v12, s19
	v_sub_co_u32_e32 v9, vcc, v7, v9
	v_subb_co_u32_e64 v11, s[0:1], v11, v12, vcc
	v_subrev_co_u32_e64 v12, s[0:1], s18, v9
	v_subbrev_co_u32_e64 v11, s[0:1], 0, v11, s[0:1]
	v_cmp_le_u32_e64 s[0:1], s19, v11
	v_cndmask_b32_e64 v13, 0, -1, s[0:1]
	v_cmp_le_u32_e64 s[0:1], s18, v12
	v_cndmask_b32_e64 v12, 0, -1, s[0:1]
	v_cmp_eq_u32_e64 s[0:1], s19, v11
	v_cndmask_b32_e64 v11, v13, v12, s[0:1]
	v_add_co_u32_e64 v12, s[0:1], 2, v2
	v_addc_co_u32_e64 v13, s[0:1], 0, v6, s[0:1]
	v_add_co_u32_e64 v14, s[0:1], 1, v2
	v_addc_co_u32_e64 v15, s[0:1], 0, v6, s[0:1]
	v_subb_co_u32_e32 v10, vcc, v8, v10, vcc
	v_cmp_ne_u32_e64 s[0:1], 0, v11
	v_cmp_le_u32_e32 vcc, s19, v10
	v_cndmask_b32_e64 v11, v15, v13, s[0:1]
	v_cndmask_b32_e64 v13, 0, -1, vcc
	v_cmp_le_u32_e32 vcc, s18, v9
	v_cndmask_b32_e64 v9, 0, -1, vcc
	v_cmp_eq_u32_e32 vcc, s19, v10
	v_cndmask_b32_e32 v9, v13, v9, vcc
	v_cmp_ne_u32_e32 vcc, 0, v9
	v_cndmask_b32_e32 v10, v6, v11, vcc
	v_cndmask_b32_e64 v6, v14, v12, s[0:1]
	v_cndmask_b32_e32 v9, v2, v6, vcc
.LBB0_4:                                ;   in Loop: Header=BB0_2 Depth=1
	s_andn2_saveexec_b64 s[0:1], s[20:21]
	s_cbranch_execz .LBB0_6
; %bb.5:                                ;   in Loop: Header=BB0_2 Depth=1
	v_cvt_f32_u32_e32 v2, s18
	s_sub_i32 s20, 0, s18
	v_rcp_iflag_f32_e32 v2, v2
	v_mul_f32_e32 v2, 0x4f7ffffe, v2
	v_cvt_u32_f32_e32 v2, v2
	v_mul_lo_u32 v6, s20, v2
	v_mul_hi_u32 v6, v2, v6
	v_add_u32_e32 v2, v2, v6
	v_mul_hi_u32 v2, v7, v2
	v_mul_lo_u32 v6, v2, s18
	v_add_u32_e32 v9, 1, v2
	v_sub_u32_e32 v6, v7, v6
	v_subrev_u32_e32 v10, s18, v6
	v_cmp_le_u32_e32 vcc, s18, v6
	v_cndmask_b32_e32 v6, v6, v10, vcc
	v_cndmask_b32_e32 v2, v2, v9, vcc
	v_add_u32_e32 v9, 1, v2
	v_cmp_le_u32_e32 vcc, s18, v6
	v_cndmask_b32_e32 v9, v2, v9, vcc
	v_mov_b32_e32 v10, v5
.LBB0_6:                                ;   in Loop: Header=BB0_2 Depth=1
	s_or_b64 exec, exec, s[0:1]
	v_mul_lo_u32 v2, v10, s18
	v_mul_lo_u32 v6, v9, s19
	v_mad_u64_u32 v[11:12], s[0:1], v9, s18, 0
	s_load_dwordx2 s[0:1], s[6:7], 0x0
	s_add_u32 s14, s14, 1
	v_add3_u32 v2, v12, v6, v2
	v_sub_co_u32_e32 v6, vcc, v7, v11
	v_subb_co_u32_e32 v2, vcc, v8, v2, vcc
	s_waitcnt lgkmcnt(0)
	v_mul_lo_u32 v2, s0, v2
	v_mul_lo_u32 v7, s1, v6
	v_mad_u64_u32 v[3:4], s[0:1], s0, v6, v[3:4]
	s_addc_u32 s15, s15, 0
	s_add_u32 s6, s6, 8
	v_add3_u32 v4, v7, v4, v2
	v_mov_b32_e32 v6, s10
	v_mov_b32_e32 v7, s11
	s_addc_u32 s7, s7, 0
	v_cmp_ge_u64_e32 vcc, s[14:15], v[6:7]
	s_add_u32 s16, s16, 8
	s_addc_u32 s17, s17, 0
	s_cbranch_vccnz .LBB0_8
; %bb.7:                                ;   in Loop: Header=BB0_2 Depth=1
	v_mov_b32_e32 v7, v9
	v_mov_b32_e32 v8, v10
	s_branch .LBB0_2
.LBB0_8:
	s_lshl_b64 s[0:1], s[10:11], 3
	s_add_u32 s0, s12, s0
	s_addc_u32 s1, s13, s1
	s_load_dwordx2 s[0:1], s[0:1], 0x0
	s_mov_b32 s6, 0xcccccccd
	v_mul_hi_u32 v5, v1, s6
	s_waitcnt lgkmcnt(0)
	v_mul_lo_u32 v6, s0, v10
	v_mul_lo_u32 v7, s1, v9
	v_mad_u64_u32 v[2:3], s[0:1], s0, v9, v[3:4]
	s_load_dwordx2 s[0:1], s[4:5], 0x20
	s_mov_b32 s4, 0x15555556
	v_lshrrev_b32_e32 v4, 2, v5
	v_mul_hi_u32 v5, v0, s4
	v_lshl_add_u32 v4, v4, 2, v4
	v_sub_u32_e32 v1, v1, v4
	v_add3_u32 v3, v7, v3, v6
	v_mul_u32_u24_e32 v22, 0x79, v1
	v_mul_u32_u24_e32 v1, 12, v5
	s_waitcnt lgkmcnt(0)
	v_cmp_gt_u64_e32 vcc, s[0:1], v[9:10]
	v_sub_u32_e32 v4, v0, v1
	v_lshlrev_b64 v[2:3], 2, v[2:3]
	v_mov_b32_e32 v5, 0
	v_lshlrev_b32_e32 v20, 2, v22
	v_mov_b32_e32 v0, v4
	s_and_saveexec_b64 s[4:5], vcc
	s_cbranch_execz .LBB0_12
; %bb.9:
	v_mov_b32_e32 v1, s3
	v_add_co_u32_e64 v0, s[0:1], s2, v2
	v_lshlrev_b64 v[6:7], 2, v[4:5]
	v_addc_co_u32_e64 v1, s[0:1], v1, v3, s[0:1]
	v_add_co_u32_e64 v6, s[0:1], v0, v6
	v_addc_co_u32_e64 v7, s[0:1], v1, v7, s[0:1]
	global_load_dword v8, v[6:7], off
	global_load_dword v9, v[6:7], off offset:48
	global_load_dword v10, v[6:7], off offset:96
	;; [unrolled: 1-line block ×9, first 2 shown]
	v_lshlrev_b32_e32 v6, 2, v4
	v_add3_u32 v7, 0, v20, v6
	v_mov_b32_e32 v6, v5
	v_cmp_eq_u32_e64 s[0:1], 11, v4
	v_mov_b32_e32 v5, v4
	s_waitcnt vmcnt(8)
	ds_write2_b32 v7, v8, v9 offset1:12
	s_waitcnt vmcnt(6)
	ds_write2_b32 v7, v10, v11 offset0:24 offset1:36
	s_waitcnt vmcnt(4)
	ds_write2_b32 v7, v12, v13 offset0:48 offset1:60
	;; [unrolled: 2-line block ×4, first 2 shown]
	s_and_saveexec_b64 s[6:7], s[0:1]
	s_cbranch_execz .LBB0_11
; %bb.10:
	global_load_dword v0, v[0:1], off offset:480
	v_mov_b32_e32 v5, 11
	v_mov_b32_e32 v6, 0
	;; [unrolled: 1-line block ×3, first 2 shown]
	s_waitcnt vmcnt(0)
	ds_write_b32 v7, v0 offset:436
.LBB0_11:
	s_or_b64 exec, exec, s[6:7]
	v_mov_b32_e32 v0, v4
	v_mov_b32_e32 v4, v5
	;; [unrolled: 1-line block ×3, first 2 shown]
.LBB0_12:
	s_or_b64 exec, exec, s[4:5]
	v_lshl_add_u32 v18, v22, 2, 0
	v_lshlrev_b32_e32 v1, 2, v0
	v_add_u32_e32 v19, v18, v1
	s_waitcnt lgkmcnt(0)
	; wave barrier
	s_waitcnt lgkmcnt(0)
	v_sub_u32_e32 v8, v18, v1
	ds_read_u16 v1, v19
	ds_read_u16 v6, v8 offset:480
	v_lshlrev_b64 v[4:5], 2, v[4:5]
	v_cmp_ne_u32_e64 s[0:1], 0, v0
	s_waitcnt lgkmcnt(0)
	v_add_f16_e32 v9, v6, v1
	v_sub_f16_e32 v10, v1, v6
	s_and_saveexec_b64 s[4:5], s[0:1]
	s_xor_b64 s[4:5], exec, s[4:5]
	s_cbranch_execz .LBB0_14
; %bb.13:
	v_mov_b32_e32 v7, s9
	v_add_co_u32_e64 v9, s[0:1], s8, v4
	v_addc_co_u32_e64 v10, s[0:1], v7, v5, s[0:1]
	global_load_dword v7, v[9:10], off offset:456
	ds_read_u16 v9, v8 offset:482
	ds_read_u16 v10, v19 offset:2
	v_add_f16_e32 v11, v6, v1
	v_sub_f16_e32 v1, v1, v6
	s_waitcnt lgkmcnt(0)
	v_add_f16_e32 v6, v9, v10
	v_sub_f16_e32 v9, v10, v9
	s_waitcnt vmcnt(0)
	v_lshrrev_b32_e32 v10, 16, v7
	v_fma_f16 v12, v1, v10, v11
	v_fma_f16 v13, v6, v10, v9
	v_fma_f16 v11, -v1, v10, v11
	v_fma_f16 v14, v6, v10, -v9
	v_fma_f16 v9, -v7, v6, v12
	v_fma_f16 v10, v1, v7, v13
	v_fma_f16 v6, v7, v6, v11
	;; [unrolled: 1-line block ×3, first 2 shown]
	v_pack_b32_f16 v1, v6, v1
	ds_write_b32 v8, v1 offset:480
.LBB0_14:
	s_andn2_saveexec_b64 s[0:1], s[4:5]
	s_cbranch_execz .LBB0_16
; %bb.15:
	ds_read_b32 v1, v18 offset:240
	s_mov_b32 s4, 0xc0004000
	s_waitcnt lgkmcnt(0)
	v_pk_mul_f16 v1, v1, s4
	ds_write_b32 v18, v1 offset:240
.LBB0_16:
	s_or_b64 exec, exec, s[0:1]
	v_mov_b32_e32 v1, 0
	s_add_u32 s0, s8, 0x1c8
	v_lshlrev_b64 v[6:7], 2, v[0:1]
	s_addc_u32 s1, s9, 0
	v_mov_b32_e32 v12, s1
	v_add_co_u32_e64 v11, s[0:1], s0, v6
	v_addc_co_u32_e64 v12, s[0:1], v12, v7, s[0:1]
	global_load_dword v13, v[11:12], off offset:48
	global_load_dword v14, v[11:12], off offset:96
	;; [unrolled: 1-line block ×4, first 2 shown]
	s_mov_b32 s0, 0x5040100
	v_perm_b32 v9, v10, v9, s0
	ds_write_b32 v19, v9
	ds_read_b32 v9, v19 offset:48
	ds_read_b32 v10, v8 offset:432
	s_movk_i32 s7, 0x3aee
	s_mov_b32 s6, 0xffff
	s_mov_b32 s10, 0xbaee3aee
	v_cmp_gt_u32_e64 s[0:1], 8, v0
	s_waitcnt lgkmcnt(0)
	v_add_f16_e32 v11, v9, v10
	v_add_f16_sdwa v12, v10, v9 dst_sel:DWORD dst_unused:UNUSED_PAD src0_sel:WORD_1 src1_sel:WORD_1
	v_sub_f16_e32 v17, v9, v10
	v_sub_f16_sdwa v9, v9, v10 dst_sel:DWORD dst_unused:UNUSED_PAD src0_sel:WORD_1 src1_sel:WORD_1
	s_waitcnt vmcnt(3)
	v_lshrrev_b32_e32 v10, 16, v13
	v_fma_f16 v21, v17, v10, v11
	v_fma_f16 v23, v12, v10, v9
	v_fma_f16 v11, -v17, v10, v11
	v_fma_f16 v9, v12, v10, -v9
	v_fma_f16 v10, -v13, v12, v21
	v_fma_f16 v21, v17, v13, v23
	v_fma_f16 v11, v13, v12, v11
	;; [unrolled: 1-line block ×3, first 2 shown]
	v_pack_b32_f16 v10, v10, v21
	v_pack_b32_f16 v9, v11, v9
	ds_write_b32 v19, v10 offset:48
	ds_write_b32 v8, v9 offset:432
	ds_read_b32 v9, v19 offset:96
	ds_read_b32 v10, v8 offset:384
	s_waitcnt vmcnt(2)
	v_lshrrev_b32_e32 v11, 16, v14
	s_waitcnt lgkmcnt(0)
	v_add_f16_e32 v12, v9, v10
	v_add_f16_sdwa v13, v10, v9 dst_sel:DWORD dst_unused:UNUSED_PAD src0_sel:WORD_1 src1_sel:WORD_1
	v_sub_f16_e32 v17, v9, v10
	v_sub_f16_sdwa v9, v9, v10 dst_sel:DWORD dst_unused:UNUSED_PAD src0_sel:WORD_1 src1_sel:WORD_1
	v_fma_f16 v10, v17, v11, v12
	v_fma_f16 v21, v13, v11, v9
	v_fma_f16 v12, -v17, v11, v12
	v_fma_f16 v9, v13, v11, -v9
	v_fma_f16 v10, -v14, v13, v10
	v_fma_f16 v11, v17, v14, v21
	v_fma_f16 v12, v14, v13, v12
	;; [unrolled: 1-line block ×3, first 2 shown]
	v_pack_b32_f16 v10, v10, v11
	v_pack_b32_f16 v9, v12, v9
	ds_write_b32 v19, v10 offset:96
	ds_write_b32 v8, v9 offset:384
	ds_read_b32 v9, v19 offset:144
	ds_read_b32 v10, v8 offset:336
	s_waitcnt vmcnt(1)
	v_lshrrev_b32_e32 v12, 16, v15
	v_lshl_add_u32 v11, v0, 2, 0
	v_mad_u32_u24 v23, v0, 20, v11
	s_waitcnt lgkmcnt(0)
	v_add_f16_e32 v13, v9, v10
	v_add_f16_sdwa v14, v10, v9 dst_sel:DWORD dst_unused:UNUSED_PAD src0_sel:WORD_1 src1_sel:WORD_1
	v_sub_f16_e32 v17, v9, v10
	v_sub_f16_sdwa v9, v9, v10 dst_sel:DWORD dst_unused:UNUSED_PAD src0_sel:WORD_1 src1_sel:WORD_1
	v_fma_f16 v10, v17, v12, v13
	v_fma_f16 v21, v14, v12, v9
	v_fma_f16 v13, -v17, v12, v13
	v_fma_f16 v9, v14, v12, -v9
	v_fma_f16 v10, -v15, v14, v10
	v_fma_f16 v12, v17, v15, v21
	v_fma_f16 v13, v15, v14, v13
	;; [unrolled: 1-line block ×3, first 2 shown]
	v_pack_b32_f16 v10, v10, v12
	v_pack_b32_f16 v9, v13, v9
	ds_write_b32 v19, v10 offset:144
	ds_write_b32 v8, v9 offset:336
	ds_read_b32 v9, v19 offset:192
	ds_read_b32 v10, v8 offset:288
	v_add_u32_e32 v21, v11, v20
	s_waitcnt vmcnt(0)
	v_lshrrev_b32_e32 v11, 16, v16
	s_waitcnt lgkmcnt(0)
	v_add_f16_e32 v12, v9, v10
	v_add_f16_sdwa v13, v10, v9 dst_sel:DWORD dst_unused:UNUSED_PAD src0_sel:WORD_1 src1_sel:WORD_1
	v_sub_f16_e32 v14, v9, v10
	v_sub_f16_sdwa v9, v9, v10 dst_sel:DWORD dst_unused:UNUSED_PAD src0_sel:WORD_1 src1_sel:WORD_1
	v_fma_f16 v10, v14, v11, v12
	v_fma_f16 v15, v13, v11, v9
	v_fma_f16 v12, -v14, v11, v12
	v_fma_f16 v9, v13, v11, -v9
	v_fma_f16 v10, -v16, v13, v10
	v_fma_f16 v11, v14, v16, v15
	v_fma_f16 v12, v16, v13, v12
	;; [unrolled: 1-line block ×3, first 2 shown]
	v_pack_b32_f16 v10, v10, v11
	v_pack_b32_f16 v9, v12, v9
	ds_write_b32 v19, v10 offset:192
	ds_write_b32 v8, v9 offset:288
	s_waitcnt lgkmcnt(0)
	; wave barrier
	s_waitcnt lgkmcnt(0)
	s_waitcnt lgkmcnt(0)
	; wave barrier
	s_waitcnt lgkmcnt(0)
	ds_read2_b32 v[14:15], v21 offset0:32 offset1:40
	ds_read2_b32 v[16:17], v21 offset0:72 offset1:80
	;; [unrolled: 1-line block ×5, first 2 shown]
	ds_read_b32 v25, v19
	ds_read_b32 v24, v21 offset:448
	s_waitcnt lgkmcnt(5)
	v_pk_add_f16 v26, v15, v17
	v_pk_add_f16 v27, v15, v17 neg_lo:[0,1] neg_hi:[0,1]
	s_waitcnt lgkmcnt(3)
	v_pk_add_f16 v28, v9, v11
	v_pk_add_f16 v29, v9, v11 neg_lo:[0,1] neg_hi:[0,1]
	s_waitcnt lgkmcnt(1)
	v_pk_add_f16 v15, v25, v15
	v_pk_add_f16 v9, v13, v9
	v_pk_fma_f16 v25, v26, 0.5, v25 op_sel_hi:[1,0,1] neg_lo:[1,0,0] neg_hi:[1,0,0]
	v_pk_mul_f16 v26, v27, s7 op_sel_hi:[1,0]
	v_pk_fma_f16 v13, v28, 0.5, v13 op_sel_hi:[1,0,1] neg_lo:[1,0,0] neg_hi:[1,0,0]
	v_pk_add_f16 v15, v15, v17
	v_pk_add_f16 v9, v9, v11
	v_pk_add_f16 v11, v25, v26 op_sel:[0,1] op_sel_hi:[1,0]
	v_pk_add_f16 v17, v25, v26 op_sel:[0,1] op_sel_hi:[1,0] neg_lo:[0,1] neg_hi:[0,1]
	v_pk_fma_f16 v25, v29, s7, v13 op_sel:[0,0,1] op_sel_hi:[1,0,0]
	v_pk_fma_f16 v13, v29, s7, v13 op_sel:[0,0,1] op_sel_hi:[1,0,0] neg_lo:[1,0,0] neg_hi:[1,0,0]
	v_lshrrev_b32_e32 v26, 16, v25
	v_mul_f16_e32 v27, 0x3aee, v13
	v_fma_f16 v27, v26, 0.5, v27
	v_mul_f16_e32 v26, 0xbaee, v26
	v_fma_f16 v26, v13, 0.5, v26
	v_bfi_b32 v13, s6, v25, v13
	v_pk_mul_f16 v25, v13, 0.5 op_sel_hi:[1,0]
	v_add_f16_e32 v28, v11, v27
	v_add_f16_sdwa v29, v17, v26 dst_sel:DWORD dst_unused:UNUSED_PAD src0_sel:WORD_1 src1_sel:DWORD
	v_pk_add_f16 v30, v15, v9
	v_pk_fma_f16 v13, v13, s10, v25 op_sel:[0,0,1] op_sel_hi:[1,1,0] neg_lo:[0,0,1] neg_hi:[0,0,1]
	v_pk_add_f16 v9, v15, v9 neg_lo:[0,1] neg_hi:[0,1]
	v_bfi_b32 v15, s6, v17, v11
	v_pack_b32_f16 v28, v28, v29
	v_add_u32_e32 v29, v23, v20
	v_pk_add_f16 v15, v15, v13
	s_waitcnt lgkmcnt(0)
	; wave barrier
	s_waitcnt lgkmcnt(0)
	ds_write2_b32 v29, v15, v9 offset0:2 offset1:3
	v_sub_f16_e32 v9, v11, v27
	v_sub_f16_sdwa v11, v11, v13 dst_sel:DWORD dst_unused:UNUSED_PAD src0_sel:WORD_1 src1_sel:WORD_1
	v_pack_b32_f16 v13, v26, v13
	v_pk_add_f16 v13, v17, v13 op_sel:[1,0] op_sel_hi:[0,1] neg_lo:[0,1] neg_hi:[0,1]
	v_alignbit_b32 v11, v11, v13, 16
	v_pack_b32_f16 v9, v9, v13
	ds_write2_b32 v29, v30, v28 offset1:1
	ds_write2_b32 v29, v9, v11 offset0:4 offset1:5
	s_and_saveexec_b64 s[4:5], s[0:1]
	s_cbranch_execz .LBB0_18
; %bb.17:
	v_pk_add_f16 v11, v14, v16
	v_pk_add_f16 v17, v16, v24 neg_lo:[0,1] neg_hi:[0,1]
	v_pk_add_f16 v16, v16, v24
	v_pk_fma_f16 v14, v16, 0.5, v14 op_sel_hi:[1,0,1] neg_lo:[1,0,0] neg_hi:[1,0,0]
	v_pk_fma_f16 v16, v17, s7, v14 op_sel:[0,0,1] op_sel_hi:[1,0,0]
	v_pk_fma_f16 v14, v17, s7, v14 op_sel:[0,0,1] op_sel_hi:[1,0,0] neg_lo:[1,0,0] neg_hi:[1,0,0]
	v_bfi_b32 v17, s6, v16, v14
	v_lshrrev_b32_e32 v16, 16, v16
	v_pk_add_f16 v9, v12, v8
	v_lshl_add_u32 v13, v22, 2, v23
	v_pk_add_f16 v11, v11, v24
	v_pk_add_f16 v22, v8, v10
	v_pk_add_f16 v8, v8, v10 neg_lo:[0,1] neg_hi:[0,1]
	v_mul_f16_e32 v24, 0xbaee, v16
	v_pk_fma_f16 v12, v22, 0.5, v12 op_sel_hi:[1,0,1] neg_lo:[1,0,0] neg_hi:[1,0,0]
	v_pk_mul_f16 v8, v8, s7 op_sel_hi:[1,0]
	v_pk_mul_f16 v22, v17, 0.5 op_sel_hi:[1,0]
	v_fma_f16 v24, v14, 0.5, v24
	v_mul_f16_e32 v14, 0x3aee, v14
	v_pk_add_f16 v9, v9, v10
	v_pk_add_f16 v10, v12, v8 op_sel:[0,1] op_sel_hi:[1,0] neg_lo:[0,1] neg_hi:[0,1]
	v_pk_add_f16 v8, v12, v8 op_sel:[0,1] op_sel_hi:[1,0]
	v_pk_fma_f16 v17, v17, s10, v22 op_sel:[0,0,1] op_sel_hi:[1,1,0] neg_lo:[0,0,1] neg_hi:[0,0,1]
	v_fma_f16 v14, v16, 0.5, v14
	v_bfi_b32 v12, s6, v10, v8
	v_sub_f16_sdwa v22, v8, v17 dst_sel:DWORD dst_unused:UNUSED_PAD src0_sel:WORD_1 src1_sel:WORD_1
	v_sub_f16_e32 v16, v8, v14
	v_add_f16_sdwa v25, v10, v24 dst_sel:DWORD dst_unused:UNUSED_PAD src0_sel:WORD_1 src1_sel:DWORD
	v_add_f16_e32 v8, v8, v14
	v_pk_add_f16 v15, v9, v11
	v_pack_b32_f16 v8, v8, v25
	v_pk_add_f16 v12, v12, v17
	ds_write2_b32 v13, v15, v8 offset0:72 offset1:73
	v_pk_add_f16 v8, v9, v11 neg_lo:[0,1] neg_hi:[0,1]
	ds_write2_b32 v13, v12, v8 offset0:74 offset1:75
	v_pack_b32_f16 v8, v24, v17
	v_pk_add_f16 v8, v10, v8 op_sel:[1,0] op_sel_hi:[0,1] neg_lo:[0,1] neg_hi:[0,1]
	v_alignbit_b32 v9, v22, v8, 16
	v_pack_b32_f16 v8, v16, v8
	ds_write2_b32 v13, v8, v9 offset0:76 offset1:77
.LBB0_18:
	s_or_b64 exec, exec, s[4:5]
	v_add_u32_e32 v8, -6, v0
	v_cmp_gt_u32_e64 s[0:1], 6, v0
	v_cndmask_b32_e64 v28, v8, v0, s[0:1]
	v_mul_i32_i24_e32 v8, 9, v28
	v_mov_b32_e32 v9, v1
	v_lshlrev_b64 v[8:9], 2, v[8:9]
	v_mov_b32_e32 v1, s9
	v_add_co_u32_e64 v16, s[0:1], s8, v8
	v_addc_co_u32_e64 v17, s[0:1], v1, v9, s[0:1]
	s_waitcnt lgkmcnt(0)
	; wave barrier
	s_waitcnt lgkmcnt(0)
	global_load_dwordx4 v[8:11], v[16:17], off
	global_load_dwordx4 v[12:15], v[16:17], off offset:16
	global_load_dword v29, v[16:17], off offset:32
	v_mul_i32_i24_e32 v22, 0xffffffec, v0
	v_mov_b32_e32 v24, 0xf0
	v_add3_u32 v30, v23, v22, v20
	v_cmp_lt_u32_e64 s[0:1], 5, v0
	ds_read2_b32 v[16:17], v21 offset0:60 offset1:72
	v_cndmask_b32_e64 v31, 0, v24, s[0:1]
	ds_read2_b32 v[22:23], v30 offset0:12 offset1:24
	ds_read2_b32 v[24:25], v30 offset0:36 offset1:48
	;; [unrolled: 1-line block ×3, first 2 shown]
	ds_read_b32 v32, v30 offset:432
	ds_read_b32 v33, v19
	v_add_u32_e32 v31, 0, v31
	s_waitcnt lgkmcnt(4)
	v_lshrrev_b32_e32 v34, 16, v22
	s_waitcnt lgkmcnt(3)
	v_lshrrev_b32_e32 v37, 16, v25
	v_lshlrev_b32_e32 v28, 2, v28
	v_lshrrev_b32_e32 v35, 16, v23
	v_add3_u32 v20, v31, v28, v20
	v_lshrrev_b32_e32 v31, 16, v17
	v_lshrrev_b32_e32 v36, 16, v24
	s_waitcnt lgkmcnt(2)
	v_lshrrev_b32_e32 v38, 16, v26
	v_lshrrev_b32_e32 v39, 16, v27
	;; [unrolled: 1-line block ×3, first 2 shown]
	s_waitcnt lgkmcnt(1)
	v_lshrrev_b32_e32 v40, 16, v32
	s_movk_i32 s4, 0x3b9c
	s_mov_b32 s9, 0xbb9c
	s_movk_i32 s5, 0x38b4
	s_mov_b32 s10, 0xb8b4
	s_movk_i32 s7, 0x34f2
	s_movk_i32 s0, 0x3a79
	s_waitcnt lgkmcnt(0)
	; wave barrier
	s_waitcnt vmcnt(2) lgkmcnt(0)
	v_mul_f16_sdwa v41, v8, v34 dst_sel:DWORD dst_unused:UNUSED_PAD src0_sel:WORD_1 src1_sel:DWORD
	v_mul_f16_sdwa v42, v8, v22 dst_sel:DWORD dst_unused:UNUSED_PAD src0_sel:WORD_1 src1_sel:DWORD
	v_fma_f16 v22, v8, v22, -v41
	v_mul_f16_sdwa v41, v11, v37 dst_sel:DWORD dst_unused:UNUSED_PAD src0_sel:WORD_1 src1_sel:DWORD
	v_mul_f16_sdwa v43, v9, v35 dst_sel:DWORD dst_unused:UNUSED_PAD src0_sel:WORD_1 src1_sel:DWORD
	v_fma_f16 v41, v11, v25, -v41
	v_mul_f16_sdwa v25, v11, v25 dst_sel:DWORD dst_unused:UNUSED_PAD src0_sel:WORD_1 src1_sel:DWORD
	v_mul_f16_sdwa v44, v9, v23 dst_sel:DWORD dst_unused:UNUSED_PAD src0_sel:WORD_1 src1_sel:DWORD
	;; [unrolled: 1-line block ×3, first 2 shown]
	v_fma_f16 v23, v9, v23, -v43
	v_mul_f16_sdwa v43, v10, v24 dst_sel:DWORD dst_unused:UNUSED_PAD src0_sel:WORD_1 src1_sel:DWORD
	v_fma_f16 v8, v8, v34, v42
	s_waitcnt vmcnt(1)
	v_mul_f16_sdwa v34, v31, v13 dst_sel:DWORD dst_unused:UNUSED_PAD src0_sel:DWORD src1_sel:WORD_1
	v_fma_f16 v11, v11, v37, v25
	v_mul_f16_sdwa v25, v38, v14 dst_sel:DWORD dst_unused:UNUSED_PAD src0_sel:DWORD src1_sel:WORD_1
	v_mul_f16_sdwa v37, v39, v15 dst_sel:DWORD dst_unused:UNUSED_PAD src0_sel:DWORD src1_sel:WORD_1
	v_fma_f16 v24, v10, v24, -v45
	v_mul_f16_sdwa v45, v12, v28 dst_sel:DWORD dst_unused:UNUSED_PAD src0_sel:WORD_1 src1_sel:DWORD
	v_fma_f16 v9, v9, v35, v44
	v_mul_f16_sdwa v35, v12, v16 dst_sel:DWORD dst_unused:UNUSED_PAD src0_sel:WORD_1 src1_sel:DWORD
	v_fma_f16 v10, v10, v36, v43
	v_mul_f16_sdwa v36, v17, v13 dst_sel:DWORD dst_unused:UNUSED_PAD src0_sel:DWORD src1_sel:WORD_1
	v_mul_f16_sdwa v42, v26, v14 dst_sel:DWORD dst_unused:UNUSED_PAD src0_sel:DWORD src1_sel:WORD_1
	;; [unrolled: 1-line block ×3, first 2 shown]
	s_waitcnt vmcnt(0)
	v_mul_f16_sdwa v44, v40, v29 dst_sel:DWORD dst_unused:UNUSED_PAD src0_sel:DWORD src1_sel:WORD_1
	v_fma_f16 v17, v17, v13, -v34
	v_mul_f16_sdwa v34, v32, v29 dst_sel:DWORD dst_unused:UNUSED_PAD src0_sel:DWORD src1_sel:WORD_1
	v_fma_f16 v25, v26, v14, -v25
	v_fma_f16 v26, v27, v15, -v37
	v_fma_f16 v16, v12, v16, -v45
	v_fma_f16 v12, v12, v28, v35
	v_fma_f16 v13, v31, v13, v36
	;; [unrolled: 1-line block ×3, first 2 shown]
	v_fma_f16 v27, v32, v29, -v44
	v_fma_f16 v28, v40, v29, v34
	v_sub_f16_e32 v29, v23, v41
	v_sub_f16_e32 v31, v26, v17
	v_add_f16_e32 v32, v41, v17
	v_sub_f16_e32 v34, v9, v15
	v_add_f16_e32 v29, v29, v31
	v_fma_f16 v31, v32, -0.5, v33
	v_sub_f16_e32 v35, v11, v13
	v_fma_f16 v32, v34, s4, v31
	v_fma_f16 v31, v34, s9, v31
	;; [unrolled: 1-line block ×6, first 2 shown]
	v_sub_f16_e32 v31, v41, v23
	v_sub_f16_e32 v36, v17, v26
	v_add_f16_e32 v31, v31, v36
	v_add_f16_e32 v36, v23, v26
	v_fma_f16 v36, v36, -0.5, v33
	v_fma_f16 v37, v35, s9, v36
	v_fma_f16 v35, v35, s4, v36
	;; [unrolled: 1-line block ×6, first 2 shown]
	v_add_f16_e32 v34, v33, v23
	v_add_f16_e32 v34, v34, v41
	;; [unrolled: 1-line block ×4, first 2 shown]
	v_sub_f16_e32 v23, v23, v26
	v_sub_f16_e32 v26, v9, v11
	v_sub_f16_e32 v36, v15, v13
	v_add_f16_e32 v26, v26, v36
	v_lshrrev_b32_e32 v33, 16, v33
	v_add_f16_e32 v36, v11, v13
	v_fma_f16 v36, v36, -0.5, v33
	v_sub_f16_e32 v17, v41, v17
	v_fma_f16 v37, v23, s9, v36
	v_fma_f16 v36, v23, s4, v36
	;; [unrolled: 1-line block ×6, first 2 shown]
	v_add_f16_e32 v36, v9, v15
	v_fma_f16 v36, v36, -0.5, v33
	v_add_f16_e32 v33, v33, v9
	v_add_f16_e32 v33, v33, v11
	v_sub_f16_e32 v9, v11, v9
	v_add_f16_e32 v11, v33, v13
	v_sub_f16_e32 v13, v13, v15
	v_add_f16_e32 v11, v11, v15
	v_add_f16_e32 v9, v9, v13
	v_fma_f16 v13, v17, s4, v36
	v_fma_f16 v15, v17, s9, v36
	;; [unrolled: 1-line block ×6, first 2 shown]
	v_sub_f16_e32 v15, v24, v16
	v_sub_f16_e32 v17, v27, v25
	v_add_f16_e32 v15, v15, v17
	v_add_f16_e32 v17, v16, v25
	v_fma_f16 v14, v38, v14, v42
	v_fma_f16 v17, v17, -0.5, v22
	v_sub_f16_e32 v23, v10, v28
	v_fma_f16 v33, v23, s4, v17
	v_sub_f16_e32 v36, v12, v14
	v_fma_f16 v17, v23, s9, v17
	v_fma_f16 v33, v36, s5, v33
	;; [unrolled: 1-line block ×5, first 2 shown]
	v_sub_f16_e32 v17, v16, v24
	v_sub_f16_e32 v38, v25, v27
	v_add_f16_e32 v17, v17, v38
	v_add_f16_e32 v38, v24, v27
	v_fma_f16 v38, v38, -0.5, v22
	v_fma_f16 v39, v36, s9, v38
	v_fma_f16 v36, v36, s4, v38
	v_add_f16_e32 v22, v22, v24
	v_fma_f16 v38, v23, s5, v39
	v_fma_f16 v23, v23, s10, v36
	v_add_f16_e32 v22, v22, v16
	;; [unrolled: 3-line block ×3, first 2 shown]
	v_sub_f16_e32 v23, v24, v27
	v_sub_f16_e32 v16, v16, v25
	;; [unrolled: 1-line block ×4, first 2 shown]
	v_add_f16_e32 v24, v24, v25
	v_add_f16_e32 v25, v12, v14
	v_fma_f16 v25, v25, -0.5, v8
	v_add_f16_e32 v22, v22, v27
	v_fma_f16 v27, v23, s9, v25
	v_fma_f16 v25, v23, s4, v25
	;; [unrolled: 1-line block ×6, first 2 shown]
	v_add_f16_e32 v25, v10, v28
	v_fma_f16 v25, v25, -0.5, v8
	v_add_f16_e32 v8, v8, v10
	v_add_f16_e32 v8, v8, v12
	v_sub_f16_e32 v10, v12, v10
	v_sub_f16_e32 v12, v14, v28
	v_add_f16_e32 v10, v10, v12
	v_fma_f16 v12, v16, s4, v25
	v_add_f16_e32 v8, v8, v14
	v_fma_f16 v14, v16, s9, v25
	v_fma_f16 v12, v23, s10, v12
	;; [unrolled: 1-line block ×4, first 2 shown]
	v_mul_f16_e32 v25, 0xbb9c, v36
	v_fma_f16 v10, v10, s7, v14
	v_mul_f16_e32 v23, 0x3b9c, v12
	v_fma_f16 v12, v12, s7, v25
	v_mul_f16_e32 v25, 0x34f2, v17
	v_fma_f16 v25, v10, s4, -v25
	v_mul_f16_e32 v10, 0x34f2, v10
	v_fma_f16 v10, v17, s9, -v10
	v_mul_f16_e32 v17, 0x3a79, v15
	v_mul_f16_e32 v14, 0x38b4, v27
	v_fma_f16 v17, v24, s5, -v17
	v_mul_f16_e32 v24, 0x3a79, v24
	v_add_f16_e32 v8, v8, v28
	v_fma_f16 v14, v33, s0, v14
	v_mul_f16_e32 v16, 0xb8b4, v33
	v_fma_f16 v15, v15, s10, -v24
	v_fma_f16 v16, v27, s0, v16
	v_fma_f16 v23, v36, s7, v23
	v_add_f16_e32 v24, v34, v22
	v_sub_f16_e32 v22, v34, v22
	v_add_f16_e32 v27, v32, v14
	v_sub_f16_e32 v14, v32, v14
	;; [unrolled: 2-line block ×7, first 2 shown]
	v_add_f16_e32 v10, v26, v15
	v_add_f16_e32 v28, v35, v23
	v_sub_f16_e32 v23, v35, v23
	v_add_f16_e32 v11, v37, v16
	v_sub_f16_e32 v16, v37, v16
	v_pack_b32_f16 v10, v31, v10
	v_pack_b32_f16 v8, v22, v8
	v_sub_f16_e32 v15, v26, v15
	v_pack_b32_f16 v24, v24, v29
	v_pack_b32_f16 v11, v27, v11
	ds_write2_b32 v20, v10, v8 offset0:24 offset1:30
	v_pack_b32_f16 v8, v14, v16
	v_pack_b32_f16 v10, v23, v12
	v_add_co_u32_e64 v4, s[0:1], s8, v4
	ds_write2_b32 v20, v24, v11 offset1:6
	v_pack_b32_f16 v11, v28, v33
	v_pack_b32_f16 v13, v32, v13
	ds_write2_b32 v20, v8, v10 offset0:36 offset1:42
	v_pack_b32_f16 v8, v25, v9
	v_pack_b32_f16 v9, v17, v15
	v_addc_co_u32_e64 v5, s[0:1], v1, v5, s[0:1]
	ds_write2_b32 v20, v11, v13 offset0:12 offset1:18
	ds_write2_b32 v20, v8, v9 offset0:48 offset1:54
	s_waitcnt lgkmcnt(0)
	; wave barrier
	s_waitcnt lgkmcnt(0)
	global_load_dword v12, v[4:5], off offset:216
	v_add_co_u32_e64 v4, s[0:1], s8, v6
	v_addc_co_u32_e64 v5, s[0:1], v1, v7, s[0:1]
	global_load_dword v1, v[4:5], off offset:264
	global_load_dword v13, v[4:5], off offset:312
	global_load_dword v14, v[4:5], off offset:360
	global_load_dword v15, v[4:5], off offset:408
	ds_read2_b32 v[4:5], v21 offset0:60 offset1:72
	ds_read2_b32 v[6:7], v30 offset0:12 offset1:24
	;; [unrolled: 1-line block ×4, first 2 shown]
	ds_read_b32 v16, v19
	ds_read_b32 v17, v30 offset:432
	s_waitcnt lgkmcnt(0)
	; wave barrier
	s_waitcnt vmcnt(4) lgkmcnt(0)
	v_pk_mul_f16 v19, v12, v4 op_sel:[0,1]
	v_pk_fma_f16 v20, v12, v4, v19 op_sel:[0,0,1] op_sel_hi:[1,1,0] neg_lo:[0,0,1] neg_hi:[0,0,1]
	v_pk_fma_f16 v4, v12, v4, v19 op_sel:[0,0,1] op_sel_hi:[1,0,0]
	v_bfi_b32 v4, s6, v20, v4
	v_pk_add_f16 v4, v16, v4 neg_lo:[0,1] neg_hi:[0,1]
	v_pk_fma_f16 v12, v16, 2.0, v4 op_sel_hi:[1,0,1] neg_lo:[0,0,1] neg_hi:[0,0,1]
	s_waitcnt vmcnt(3)
	v_pk_mul_f16 v16, v1, v5 op_sel:[0,1]
	v_pk_fma_f16 v19, v1, v5, v16 op_sel:[0,0,1] op_sel_hi:[1,1,0] neg_lo:[0,0,1] neg_hi:[0,0,1]
	v_pk_fma_f16 v1, v1, v5, v16 op_sel:[0,0,1] op_sel_hi:[1,0,0]
	v_bfi_b32 v1, s6, v19, v1
	v_pk_add_f16 v1, v6, v1 neg_lo:[0,1] neg_hi:[0,1]
	v_pk_fma_f16 v5, v6, 2.0, v1 op_sel_hi:[1,0,1] neg_lo:[0,0,1] neg_hi:[0,0,1]
	s_waitcnt vmcnt(2)
	v_pk_mul_f16 v6, v13, v8 op_sel:[0,1]
	v_pk_fma_f16 v16, v13, v8, v6 op_sel:[0,0,1] op_sel_hi:[1,1,0] neg_lo:[0,0,1] neg_hi:[0,0,1]
	v_pk_fma_f16 v6, v13, v8, v6 op_sel:[0,0,1] op_sel_hi:[1,0,0]
	s_waitcnt vmcnt(1)
	v_pk_mul_f16 v8, v14, v9 op_sel:[0,1]
	v_pk_fma_f16 v13, v14, v9, v8 op_sel:[0,0,1] op_sel_hi:[1,1,0] neg_lo:[0,0,1] neg_hi:[0,0,1]
	v_pk_fma_f16 v8, v14, v9, v8 op_sel:[0,0,1] op_sel_hi:[1,0,0]
	v_bfi_b32 v8, s6, v13, v8
	v_pk_add_f16 v8, v10, v8 neg_lo:[0,1] neg_hi:[0,1]
	v_pk_fma_f16 v9, v10, 2.0, v8 op_sel_hi:[1,0,1] neg_lo:[0,0,1] neg_hi:[0,0,1]
	s_waitcnt vmcnt(0)
	v_pk_mul_f16 v10, v15, v17 op_sel:[0,1]
	v_pk_fma_f16 v13, v15, v17, v10 op_sel:[0,0,1] op_sel_hi:[1,1,0] neg_lo:[0,0,1] neg_hi:[0,0,1]
	v_pk_fma_f16 v10, v15, v17, v10 op_sel:[0,0,1] op_sel_hi:[1,0,0]
	v_bfi_b32 v6, s6, v16, v6
	v_bfi_b32 v10, s6, v13, v10
	v_pk_add_f16 v6, v7, v6 neg_lo:[0,1] neg_hi:[0,1]
	v_pk_add_f16 v10, v11, v10 neg_lo:[0,1] neg_hi:[0,1]
	v_pk_fma_f16 v7, v7, 2.0, v6 op_sel_hi:[1,0,1] neg_lo:[0,0,1] neg_hi:[0,0,1]
	v_pk_fma_f16 v11, v11, 2.0, v10 op_sel_hi:[1,0,1] neg_lo:[0,0,1] neg_hi:[0,0,1]
	ds_write2_b32 v21, v12, v4 offset1:60
	ds_write2_b32 v30, v5, v7 offset0:12 offset1:24
	ds_write2_b32 v30, v1, v6 offset0:72 offset1:84
	;; [unrolled: 1-line block ×4, first 2 shown]
	s_waitcnt lgkmcnt(0)
	; wave barrier
	s_waitcnt lgkmcnt(0)
	s_and_saveexec_b64 s[0:1], vcc
	s_cbranch_execz .LBB0_20
; %bb.19:
	v_lshl_add_u32 v6, v0, 2, v18
	v_mov_b32_e32 v4, s3
	v_add_co_u32_e32 v7, vcc, s2, v2
	v_mov_b32_e32 v1, 0
	v_addc_co_u32_e32 v8, vcc, v4, v3, vcc
	ds_read2_b32 v[4:5], v6 offset1:12
	v_lshlrev_b64 v[2:3], 2, v[0:1]
	v_add_co_u32_e32 v2, vcc, v7, v2
	v_addc_co_u32_e32 v3, vcc, v8, v3, vcc
	s_waitcnt lgkmcnt(0)
	global_store_dword v[2:3], v4, off
	v_add_u32_e32 v2, 12, v0
	v_mov_b32_e32 v3, v1
	v_lshlrev_b64 v[2:3], 2, v[2:3]
	v_add_co_u32_e32 v2, vcc, v7, v2
	v_addc_co_u32_e32 v3, vcc, v8, v3, vcc
	global_store_dword v[2:3], v5, off
	v_add_u32_e32 v2, 24, v0
	v_mov_b32_e32 v3, v1
	ds_read2_b32 v[4:5], v6 offset0:24 offset1:36
	v_lshlrev_b64 v[2:3], 2, v[2:3]
	v_add_co_u32_e32 v2, vcc, v7, v2
	v_addc_co_u32_e32 v3, vcc, v8, v3, vcc
	s_waitcnt lgkmcnt(0)
	global_store_dword v[2:3], v4, off
	v_add_u32_e32 v2, 36, v0
	v_mov_b32_e32 v3, v1
	v_lshlrev_b64 v[2:3], 2, v[2:3]
	v_add_co_u32_e32 v2, vcc, v7, v2
	v_addc_co_u32_e32 v3, vcc, v8, v3, vcc
	global_store_dword v[2:3], v5, off
	v_add_u32_e32 v2, 48, v0
	v_mov_b32_e32 v3, v1
	ds_read2_b32 v[4:5], v6 offset0:48 offset1:60
	;; [unrolled: 14-line block ×3, first 2 shown]
	v_lshlrev_b64 v[2:3], 2, v[2:3]
	v_add_co_u32_e32 v2, vcc, v7, v2
	v_addc_co_u32_e32 v3, vcc, v8, v3, vcc
	s_waitcnt lgkmcnt(0)
	global_store_dword v[2:3], v4, off
	v_add_u32_e32 v2, 0x54, v0
	v_mov_b32_e32 v3, v1
	v_lshlrev_b64 v[2:3], 2, v[2:3]
	v_add_co_u32_e32 v2, vcc, v7, v2
	v_addc_co_u32_e32 v3, vcc, v8, v3, vcc
	global_store_dword v[2:3], v5, off
	v_add_u32_e32 v2, 0x60, v0
	v_mov_b32_e32 v3, v1
	v_lshlrev_b64 v[2:3], 2, v[2:3]
	ds_read2_b32 v[4:5], v6 offset0:96 offset1:108
	v_add_u32_e32 v0, 0x6c, v0
	v_add_co_u32_e32 v2, vcc, v7, v2
	v_lshlrev_b64 v[0:1], 2, v[0:1]
	v_addc_co_u32_e32 v3, vcc, v8, v3, vcc
	v_add_co_u32_e32 v0, vcc, v7, v0
	v_addc_co_u32_e32 v1, vcc, v8, v1, vcc
	s_waitcnt lgkmcnt(0)
	global_store_dword v[2:3], v4, off
	global_store_dword v[0:1], v5, off
.LBB0_20:
	s_endpgm
	.section	.rodata,"a",@progbits
	.p2align	6, 0x0
	.amdhsa_kernel fft_rtc_fwd_len120_factors_6_10_2_wgs_60_tpt_12_halfLds_half_ip_CI_unitstride_sbrr_C2R_dirReg
		.amdhsa_group_segment_fixed_size 0
		.amdhsa_private_segment_fixed_size 0
		.amdhsa_kernarg_size 88
		.amdhsa_user_sgpr_count 6
		.amdhsa_user_sgpr_private_segment_buffer 1
		.amdhsa_user_sgpr_dispatch_ptr 0
		.amdhsa_user_sgpr_queue_ptr 0
		.amdhsa_user_sgpr_kernarg_segment_ptr 1
		.amdhsa_user_sgpr_dispatch_id 0
		.amdhsa_user_sgpr_flat_scratch_init 0
		.amdhsa_user_sgpr_private_segment_size 0
		.amdhsa_uses_dynamic_stack 0
		.amdhsa_system_sgpr_private_segment_wavefront_offset 0
		.amdhsa_system_sgpr_workgroup_id_x 1
		.amdhsa_system_sgpr_workgroup_id_y 0
		.amdhsa_system_sgpr_workgroup_id_z 0
		.amdhsa_system_sgpr_workgroup_info 0
		.amdhsa_system_vgpr_workitem_id 0
		.amdhsa_next_free_vgpr 46
		.amdhsa_next_free_sgpr 22
		.amdhsa_reserve_vcc 1
		.amdhsa_reserve_flat_scratch 0
		.amdhsa_float_round_mode_32 0
		.amdhsa_float_round_mode_16_64 0
		.amdhsa_float_denorm_mode_32 3
		.amdhsa_float_denorm_mode_16_64 3
		.amdhsa_dx10_clamp 1
		.amdhsa_ieee_mode 1
		.amdhsa_fp16_overflow 0
		.amdhsa_exception_fp_ieee_invalid_op 0
		.amdhsa_exception_fp_denorm_src 0
		.amdhsa_exception_fp_ieee_div_zero 0
		.amdhsa_exception_fp_ieee_overflow 0
		.amdhsa_exception_fp_ieee_underflow 0
		.amdhsa_exception_fp_ieee_inexact 0
		.amdhsa_exception_int_div_zero 0
	.end_amdhsa_kernel
	.text
.Lfunc_end0:
	.size	fft_rtc_fwd_len120_factors_6_10_2_wgs_60_tpt_12_halfLds_half_ip_CI_unitstride_sbrr_C2R_dirReg, .Lfunc_end0-fft_rtc_fwd_len120_factors_6_10_2_wgs_60_tpt_12_halfLds_half_ip_CI_unitstride_sbrr_C2R_dirReg
                                        ; -- End function
	.section	.AMDGPU.csdata,"",@progbits
; Kernel info:
; codeLenInByte = 5644
; NumSgprs: 26
; NumVgprs: 46
; ScratchSize: 0
; MemoryBound: 0
; FloatMode: 240
; IeeeMode: 1
; LDSByteSize: 0 bytes/workgroup (compile time only)
; SGPRBlocks: 3
; VGPRBlocks: 11
; NumSGPRsForWavesPerEU: 26
; NumVGPRsForWavesPerEU: 46
; Occupancy: 5
; WaveLimiterHint : 1
; COMPUTE_PGM_RSRC2:SCRATCH_EN: 0
; COMPUTE_PGM_RSRC2:USER_SGPR: 6
; COMPUTE_PGM_RSRC2:TRAP_HANDLER: 0
; COMPUTE_PGM_RSRC2:TGID_X_EN: 1
; COMPUTE_PGM_RSRC2:TGID_Y_EN: 0
; COMPUTE_PGM_RSRC2:TGID_Z_EN: 0
; COMPUTE_PGM_RSRC2:TIDIG_COMP_CNT: 0
	.type	__hip_cuid_5b4f8095da31e6ed,@object ; @__hip_cuid_5b4f8095da31e6ed
	.section	.bss,"aw",@nobits
	.globl	__hip_cuid_5b4f8095da31e6ed
__hip_cuid_5b4f8095da31e6ed:
	.byte	0                               ; 0x0
	.size	__hip_cuid_5b4f8095da31e6ed, 1

	.ident	"AMD clang version 19.0.0git (https://github.com/RadeonOpenCompute/llvm-project roc-6.4.0 25133 c7fe45cf4b819c5991fe208aaa96edf142730f1d)"
	.section	".note.GNU-stack","",@progbits
	.addrsig
	.addrsig_sym __hip_cuid_5b4f8095da31e6ed
	.amdgpu_metadata
---
amdhsa.kernels:
  - .args:
      - .actual_access:  read_only
        .address_space:  global
        .offset:         0
        .size:           8
        .value_kind:     global_buffer
      - .offset:         8
        .size:           8
        .value_kind:     by_value
      - .actual_access:  read_only
        .address_space:  global
        .offset:         16
        .size:           8
        .value_kind:     global_buffer
      - .actual_access:  read_only
        .address_space:  global
        .offset:         24
        .size:           8
        .value_kind:     global_buffer
      - .offset:         32
        .size:           8
        .value_kind:     by_value
      - .actual_access:  read_only
        .address_space:  global
        .offset:         40
        .size:           8
        .value_kind:     global_buffer
      - .actual_access:  read_only
        .address_space:  global
        .offset:         48
        .size:           8
        .value_kind:     global_buffer
      - .offset:         56
        .size:           4
        .value_kind:     by_value
      - .actual_access:  read_only
        .address_space:  global
        .offset:         64
        .size:           8
        .value_kind:     global_buffer
      - .actual_access:  read_only
        .address_space:  global
        .offset:         72
        .size:           8
        .value_kind:     global_buffer
      - .address_space:  global
        .offset:         80
        .size:           8
        .value_kind:     global_buffer
    .group_segment_fixed_size: 0
    .kernarg_segment_align: 8
    .kernarg_segment_size: 88
    .language:       OpenCL C
    .language_version:
      - 2
      - 0
    .max_flat_workgroup_size: 60
    .name:           fft_rtc_fwd_len120_factors_6_10_2_wgs_60_tpt_12_halfLds_half_ip_CI_unitstride_sbrr_C2R_dirReg
    .private_segment_fixed_size: 0
    .sgpr_count:     26
    .sgpr_spill_count: 0
    .symbol:         fft_rtc_fwd_len120_factors_6_10_2_wgs_60_tpt_12_halfLds_half_ip_CI_unitstride_sbrr_C2R_dirReg.kd
    .uniform_work_group_size: 1
    .uses_dynamic_stack: false
    .vgpr_count:     46
    .vgpr_spill_count: 0
    .wavefront_size: 64
amdhsa.target:   amdgcn-amd-amdhsa--gfx906
amdhsa.version:
  - 1
  - 2
...

	.end_amdgpu_metadata
